;; amdgpu-corpus repo=ROCm/rocFFT kind=compiled arch=gfx1201 opt=O3
	.text
	.amdgcn_target "amdgcn-amd-amdhsa--gfx1201"
	.amdhsa_code_object_version 6
	.protected	fft_rtc_back_len660_factors_11_6_10_wgs_110_tpt_110_halfLds_sp_ip_CI_unitstride_sbrr_R2C_dirReg ; -- Begin function fft_rtc_back_len660_factors_11_6_10_wgs_110_tpt_110_halfLds_sp_ip_CI_unitstride_sbrr_R2C_dirReg
	.globl	fft_rtc_back_len660_factors_11_6_10_wgs_110_tpt_110_halfLds_sp_ip_CI_unitstride_sbrr_R2C_dirReg
	.p2align	8
	.type	fft_rtc_back_len660_factors_11_6_10_wgs_110_tpt_110_halfLds_sp_ip_CI_unitstride_sbrr_R2C_dirReg,@function
fft_rtc_back_len660_factors_11_6_10_wgs_110_tpt_110_halfLds_sp_ip_CI_unitstride_sbrr_R2C_dirReg: ; @fft_rtc_back_len660_factors_11_6_10_wgs_110_tpt_110_halfLds_sp_ip_CI_unitstride_sbrr_R2C_dirReg
; %bb.0:
	s_clause 0x2
	s_load_b128 s[4:7], s[0:1], 0x0
	s_load_b64 s[8:9], s[0:1], 0x50
	s_load_b64 s[10:11], s[0:1], 0x18
	v_mul_u32_u24_e32 v1, 0x254, v0
	v_mov_b32_e32 v3, 0
	s_delay_alu instid0(VALU_DEP_2) | instskip(NEXT) | instid1(VALU_DEP_1)
	v_lshrrev_b32_e32 v1, 16, v1
	v_add_nc_u32_e32 v5, ttmp9, v1
	v_mov_b32_e32 v1, 0
	v_mov_b32_e32 v2, 0
	;; [unrolled: 1-line block ×3, first 2 shown]
	s_wait_kmcnt 0x0
	v_cmp_lt_u64_e64 s2, s[6:7], 2
	s_delay_alu instid0(VALU_DEP_1)
	s_and_b32 vcc_lo, exec_lo, s2
	s_cbranch_vccnz .LBB0_8
; %bb.1:
	s_load_b64 s[2:3], s[0:1], 0x10
	v_mov_b32_e32 v1, 0
	v_mov_b32_e32 v2, 0
	s_add_nc_u64 s[12:13], s[10:11], 8
	s_mov_b64 s[14:15], 1
	s_wait_kmcnt 0x0
	s_add_nc_u64 s[16:17], s[2:3], 8
	s_mov_b32 s3, 0
.LBB0_2:                                ; =>This Inner Loop Header: Depth=1
	s_load_b64 s[18:19], s[16:17], 0x0
                                        ; implicit-def: $vgpr7_vgpr8
	s_mov_b32 s2, exec_lo
	s_wait_kmcnt 0x0
	v_or_b32_e32 v4, s19, v6
	s_delay_alu instid0(VALU_DEP_1)
	v_cmpx_ne_u64_e32 0, v[3:4]
	s_wait_alu 0xfffe
	s_xor_b32 s20, exec_lo, s2
	s_cbranch_execz .LBB0_4
; %bb.3:                                ;   in Loop: Header=BB0_2 Depth=1
	s_cvt_f32_u32 s2, s18
	s_cvt_f32_u32 s21, s19
	s_sub_nc_u64 s[24:25], 0, s[18:19]
	s_wait_alu 0xfffe
	s_delay_alu instid0(SALU_CYCLE_1) | instskip(SKIP_1) | instid1(SALU_CYCLE_2)
	s_fmamk_f32 s2, s21, 0x4f800000, s2
	s_wait_alu 0xfffe
	v_s_rcp_f32 s2, s2
	s_delay_alu instid0(TRANS32_DEP_1) | instskip(SKIP_1) | instid1(SALU_CYCLE_2)
	s_mul_f32 s2, s2, 0x5f7ffffc
	s_wait_alu 0xfffe
	s_mul_f32 s21, s2, 0x2f800000
	s_wait_alu 0xfffe
	s_delay_alu instid0(SALU_CYCLE_2) | instskip(SKIP_1) | instid1(SALU_CYCLE_2)
	s_trunc_f32 s21, s21
	s_wait_alu 0xfffe
	s_fmamk_f32 s2, s21, 0xcf800000, s2
	s_cvt_u32_f32 s23, s21
	s_wait_alu 0xfffe
	s_delay_alu instid0(SALU_CYCLE_1) | instskip(SKIP_1) | instid1(SALU_CYCLE_2)
	s_cvt_u32_f32 s22, s2
	s_wait_alu 0xfffe
	s_mul_u64 s[26:27], s[24:25], s[22:23]
	s_wait_alu 0xfffe
	s_mul_hi_u32 s29, s22, s27
	s_mul_i32 s28, s22, s27
	s_mul_hi_u32 s2, s22, s26
	s_mul_i32 s30, s23, s26
	s_wait_alu 0xfffe
	s_add_nc_u64 s[28:29], s[2:3], s[28:29]
	s_mul_hi_u32 s21, s23, s26
	s_mul_hi_u32 s31, s23, s27
	s_add_co_u32 s2, s28, s30
	s_wait_alu 0xfffe
	s_add_co_ci_u32 s2, s29, s21
	s_mul_i32 s26, s23, s27
	s_add_co_ci_u32 s27, s31, 0
	s_wait_alu 0xfffe
	s_add_nc_u64 s[26:27], s[2:3], s[26:27]
	s_wait_alu 0xfffe
	v_add_co_u32 v4, s2, s22, s26
	s_delay_alu instid0(VALU_DEP_1) | instskip(SKIP_1) | instid1(VALU_DEP_1)
	s_cmp_lg_u32 s2, 0
	s_add_co_ci_u32 s23, s23, s27
	v_readfirstlane_b32 s22, v4
	s_wait_alu 0xfffe
	s_delay_alu instid0(VALU_DEP_1)
	s_mul_u64 s[24:25], s[24:25], s[22:23]
	s_wait_alu 0xfffe
	s_mul_hi_u32 s27, s22, s25
	s_mul_i32 s26, s22, s25
	s_mul_hi_u32 s2, s22, s24
	s_mul_i32 s28, s23, s24
	s_wait_alu 0xfffe
	s_add_nc_u64 s[26:27], s[2:3], s[26:27]
	s_mul_hi_u32 s21, s23, s24
	s_mul_hi_u32 s22, s23, s25
	s_wait_alu 0xfffe
	s_add_co_u32 s2, s26, s28
	s_add_co_ci_u32 s2, s27, s21
	s_mul_i32 s24, s23, s25
	s_add_co_ci_u32 s25, s22, 0
	s_wait_alu 0xfffe
	s_add_nc_u64 s[24:25], s[2:3], s[24:25]
	s_wait_alu 0xfffe
	v_add_co_u32 v4, s2, v4, s24
	s_delay_alu instid0(VALU_DEP_1) | instskip(SKIP_1) | instid1(VALU_DEP_1)
	s_cmp_lg_u32 s2, 0
	s_add_co_ci_u32 s2, s23, s25
	v_mul_hi_u32 v13, v5, v4
	s_wait_alu 0xfffe
	v_mad_co_u64_u32 v[7:8], null, v5, s2, 0
	v_mad_co_u64_u32 v[9:10], null, v6, v4, 0
	;; [unrolled: 1-line block ×3, first 2 shown]
	s_delay_alu instid0(VALU_DEP_3) | instskip(SKIP_1) | instid1(VALU_DEP_4)
	v_add_co_u32 v4, vcc_lo, v13, v7
	s_wait_alu 0xfffd
	v_add_co_ci_u32_e32 v7, vcc_lo, 0, v8, vcc_lo
	s_delay_alu instid0(VALU_DEP_2) | instskip(SKIP_1) | instid1(VALU_DEP_2)
	v_add_co_u32 v4, vcc_lo, v4, v9
	s_wait_alu 0xfffd
	v_add_co_ci_u32_e32 v4, vcc_lo, v7, v10, vcc_lo
	s_wait_alu 0xfffd
	v_add_co_ci_u32_e32 v7, vcc_lo, 0, v12, vcc_lo
	s_delay_alu instid0(VALU_DEP_2) | instskip(SKIP_1) | instid1(VALU_DEP_2)
	v_add_co_u32 v4, vcc_lo, v4, v11
	s_wait_alu 0xfffd
	v_add_co_ci_u32_e32 v9, vcc_lo, 0, v7, vcc_lo
	s_delay_alu instid0(VALU_DEP_2) | instskip(SKIP_1) | instid1(VALU_DEP_3)
	v_mul_lo_u32 v10, s19, v4
	v_mad_co_u64_u32 v[7:8], null, s18, v4, 0
	v_mul_lo_u32 v11, s18, v9
	s_delay_alu instid0(VALU_DEP_2) | instskip(NEXT) | instid1(VALU_DEP_2)
	v_sub_co_u32 v7, vcc_lo, v5, v7
	v_add3_u32 v8, v8, v11, v10
	s_delay_alu instid0(VALU_DEP_1) | instskip(SKIP_1) | instid1(VALU_DEP_1)
	v_sub_nc_u32_e32 v10, v6, v8
	s_wait_alu 0xfffd
	v_subrev_co_ci_u32_e64 v10, s2, s19, v10, vcc_lo
	v_add_co_u32 v11, s2, v4, 2
	s_wait_alu 0xf1ff
	v_add_co_ci_u32_e64 v12, s2, 0, v9, s2
	v_sub_co_u32 v13, s2, v7, s18
	v_sub_co_ci_u32_e32 v8, vcc_lo, v6, v8, vcc_lo
	s_wait_alu 0xf1ff
	v_subrev_co_ci_u32_e64 v10, s2, 0, v10, s2
	s_delay_alu instid0(VALU_DEP_3) | instskip(NEXT) | instid1(VALU_DEP_3)
	v_cmp_le_u32_e32 vcc_lo, s18, v13
	v_cmp_eq_u32_e64 s2, s19, v8
	s_wait_alu 0xfffd
	v_cndmask_b32_e64 v13, 0, -1, vcc_lo
	v_cmp_le_u32_e32 vcc_lo, s19, v10
	s_wait_alu 0xfffd
	v_cndmask_b32_e64 v14, 0, -1, vcc_lo
	v_cmp_le_u32_e32 vcc_lo, s18, v7
	;; [unrolled: 3-line block ×3, first 2 shown]
	s_wait_alu 0xfffd
	v_cndmask_b32_e64 v15, 0, -1, vcc_lo
	v_cmp_eq_u32_e32 vcc_lo, s19, v10
	s_wait_alu 0xf1ff
	s_delay_alu instid0(VALU_DEP_2)
	v_cndmask_b32_e64 v7, v15, v7, s2
	s_wait_alu 0xfffd
	v_cndmask_b32_e32 v10, v14, v13, vcc_lo
	v_add_co_u32 v13, vcc_lo, v4, 1
	s_wait_alu 0xfffd
	v_add_co_ci_u32_e32 v14, vcc_lo, 0, v9, vcc_lo
	s_delay_alu instid0(VALU_DEP_3) | instskip(SKIP_2) | instid1(VALU_DEP_3)
	v_cmp_ne_u32_e32 vcc_lo, 0, v10
	s_wait_alu 0xfffd
	v_cndmask_b32_e32 v10, v13, v11, vcc_lo
	v_cndmask_b32_e32 v8, v14, v12, vcc_lo
	v_cmp_ne_u32_e32 vcc_lo, 0, v7
	s_wait_alu 0xfffd
	s_delay_alu instid0(VALU_DEP_2)
	v_dual_cndmask_b32 v7, v4, v10 :: v_dual_cndmask_b32 v8, v9, v8
.LBB0_4:                                ;   in Loop: Header=BB0_2 Depth=1
	s_wait_alu 0xfffe
	s_and_not1_saveexec_b32 s2, s20
	s_cbranch_execz .LBB0_6
; %bb.5:                                ;   in Loop: Header=BB0_2 Depth=1
	v_cvt_f32_u32_e32 v4, s18
	s_sub_co_i32 s20, 0, s18
	s_delay_alu instid0(VALU_DEP_1) | instskip(NEXT) | instid1(TRANS32_DEP_1)
	v_rcp_iflag_f32_e32 v4, v4
	v_mul_f32_e32 v4, 0x4f7ffffe, v4
	s_delay_alu instid0(VALU_DEP_1) | instskip(SKIP_1) | instid1(VALU_DEP_1)
	v_cvt_u32_f32_e32 v4, v4
	s_wait_alu 0xfffe
	v_mul_lo_u32 v7, s20, v4
	s_delay_alu instid0(VALU_DEP_1) | instskip(NEXT) | instid1(VALU_DEP_1)
	v_mul_hi_u32 v7, v4, v7
	v_add_nc_u32_e32 v4, v4, v7
	s_delay_alu instid0(VALU_DEP_1) | instskip(NEXT) | instid1(VALU_DEP_1)
	v_mul_hi_u32 v4, v5, v4
	v_mul_lo_u32 v7, v4, s18
	v_add_nc_u32_e32 v8, 1, v4
	s_delay_alu instid0(VALU_DEP_2) | instskip(NEXT) | instid1(VALU_DEP_1)
	v_sub_nc_u32_e32 v7, v5, v7
	v_subrev_nc_u32_e32 v9, s18, v7
	v_cmp_le_u32_e32 vcc_lo, s18, v7
	s_wait_alu 0xfffd
	s_delay_alu instid0(VALU_DEP_2) | instskip(NEXT) | instid1(VALU_DEP_1)
	v_dual_cndmask_b32 v7, v7, v9 :: v_dual_cndmask_b32 v4, v4, v8
	v_cmp_le_u32_e32 vcc_lo, s18, v7
	s_delay_alu instid0(VALU_DEP_2) | instskip(SKIP_1) | instid1(VALU_DEP_1)
	v_add_nc_u32_e32 v8, 1, v4
	s_wait_alu 0xfffd
	v_dual_cndmask_b32 v7, v4, v8 :: v_dual_mov_b32 v8, v3
.LBB0_6:                                ;   in Loop: Header=BB0_2 Depth=1
	s_wait_alu 0xfffe
	s_or_b32 exec_lo, exec_lo, s2
	s_load_b64 s[20:21], s[12:13], 0x0
	s_delay_alu instid0(VALU_DEP_1)
	v_mul_lo_u32 v4, v8, s18
	v_mul_lo_u32 v11, v7, s19
	v_mad_co_u64_u32 v[9:10], null, v7, s18, 0
	s_add_nc_u64 s[14:15], s[14:15], 1
	s_add_nc_u64 s[12:13], s[12:13], 8
	s_wait_alu 0xfffe
	v_cmp_ge_u64_e64 s2, s[14:15], s[6:7]
	s_add_nc_u64 s[16:17], s[16:17], 8
	s_delay_alu instid0(VALU_DEP_2) | instskip(NEXT) | instid1(VALU_DEP_3)
	v_add3_u32 v4, v10, v11, v4
	v_sub_co_u32 v5, vcc_lo, v5, v9
	s_wait_alu 0xfffd
	s_delay_alu instid0(VALU_DEP_2) | instskip(SKIP_3) | instid1(VALU_DEP_2)
	v_sub_co_ci_u32_e32 v4, vcc_lo, v6, v4, vcc_lo
	s_and_b32 vcc_lo, exec_lo, s2
	s_wait_kmcnt 0x0
	v_mul_lo_u32 v6, s21, v5
	v_mul_lo_u32 v4, s20, v4
	v_mad_co_u64_u32 v[1:2], null, s20, v5, v[1:2]
	s_delay_alu instid0(VALU_DEP_1)
	v_add3_u32 v2, v6, v2, v4
	s_wait_alu 0xfffe
	s_cbranch_vccnz .LBB0_9
; %bb.7:                                ;   in Loop: Header=BB0_2 Depth=1
	v_dual_mov_b32 v5, v7 :: v_dual_mov_b32 v6, v8
	s_branch .LBB0_2
.LBB0_8:
	v_dual_mov_b32 v8, v6 :: v_dual_mov_b32 v7, v5
.LBB0_9:
	s_lshl_b64 s[2:3], s[6:7], 3
	v_mul_hi_u32 v3, 0x253c826, v0
	s_wait_alu 0xfffe
	s_add_nc_u64 s[2:3], s[10:11], s[2:3]
	s_load_b64 s[2:3], s[2:3], 0x0
	s_load_b64 s[0:1], s[0:1], 0x20
	s_delay_alu instid0(VALU_DEP_1) | instskip(NEXT) | instid1(VALU_DEP_1)
	v_mul_u32_u24_e32 v3, 0x6e, v3
	v_sub_nc_u32_e32 v28, v0, v3
	s_delay_alu instid0(VALU_DEP_1)
	v_lshl_add_u32 v34, v28, 3, 0
	s_wait_kmcnt 0x0
	v_mul_lo_u32 v4, s2, v8
	v_mul_lo_u32 v5, s3, v7
	v_mad_co_u64_u32 v[1:2], null, s2, v7, v[1:2]
	v_cmp_gt_u64_e32 vcc_lo, s[0:1], v[7:8]
	s_delay_alu instid0(VALU_DEP_2) | instskip(NEXT) | instid1(VALU_DEP_1)
	v_add3_u32 v2, v5, v2, v4
	v_lshlrev_b64_e32 v[30:31], 3, v[1:2]
	s_and_saveexec_b32 s1, vcc_lo
	s_cbranch_execz .LBB0_11
; %bb.10:
	v_dual_mov_b32 v29, 0 :: v_dual_add_nc_u32 v12, 0x400, v34
	s_delay_alu instid0(VALU_DEP_2) | instskip(SKIP_2) | instid1(VALU_DEP_3)
	v_add_co_u32 v2, s0, s8, v30
	s_wait_alu 0xf1ff
	v_add_co_ci_u32_e64 v3, s0, s9, v31, s0
	v_lshlrev_b64_e32 v[0:1], 3, v[28:29]
	v_add_nc_u32_e32 v13, 0xc00, v34
	s_delay_alu instid0(VALU_DEP_2) | instskip(SKIP_1) | instid1(VALU_DEP_3)
	v_add_co_u32 v0, s0, v2, v0
	s_wait_alu 0xf1ff
	v_add_co_ci_u32_e64 v1, s0, v3, v1, s0
	s_clause 0x5
	global_load_b64 v[2:3], v[0:1], off
	global_load_b64 v[4:5], v[0:1], off offset:880
	global_load_b64 v[6:7], v[0:1], off offset:1760
	;; [unrolled: 1-line block ×5, first 2 shown]
	s_wait_loadcnt 0x4
	ds_store_2addr_b64 v34, v[2:3], v[4:5] offset1:110
	s_wait_loadcnt 0x2
	ds_store_2addr_b64 v12, v[6:7], v[8:9] offset0:92 offset1:202
	s_wait_loadcnt 0x0
	ds_store_2addr_b64 v13, v[10:11], v[0:1] offset0:56 offset1:166
.LBB0_11:
	s_wait_alu 0xfffe
	s_or_b32 exec_lo, exec_lo, s1
	global_wb scope:SCOPE_SE
	s_wait_dscnt 0x0
	s_barrier_signal -1
	s_barrier_wait -1
	global_inv scope:SCOPE_SE
	ds_load_2addr_b64 v[8:11], v34 offset1:60
	ds_load_b64 v[32:33], v34 offset:4800
	v_add_nc_u32_e32 v29, 0xc00, v34
	v_add_nc_u32_e32 v35, 0x400, v34
	;; [unrolled: 1-line block ×3, first 2 shown]
	s_mov_b32 s1, exec_lo
	s_wait_dscnt 0x0
	v_dual_sub_f32 v37, v10, v32 :: v_dual_sub_f32 v40, v11, v33
	ds_load_2addr_b64 v[24:27], v34 offset0:120 offset1:180
	ds_load_2addr_b64 v[12:15], v29 offset0:96 offset1:156
	v_add_f32_e32 v42, v33, v11
	v_add_f32_e32 v36, v32, v10
	ds_load_2addr_b64 v[16:19], v0 offset0:104 offset1:164
	ds_load_2addr_b64 v[20:23], v35 offset0:112 offset1:172
	global_wb scope:SCOPE_SE
	s_wait_dscnt 0x0
	v_mul_f32_e32 v46, 0x3ed4b147, v42
	v_mul_f32_e32 v44, 0xbf68dda4, v40
	v_mul_f32_e32 v61, 0xbf27a4f4, v42
	v_mul_f32_e32 v54, 0xbf4178ce, v40
	v_mul_f32_e32 v93, 0xbf75a155, v42
	v_fmamk_f32 v1, v37, 0xbf68dda4, v46
	s_barrier_signal -1
	v_fmamk_f32 v5, v37, 0xbf4178ce, v61
	s_barrier_wait -1
	v_fmamk_f32 v91, v37, 0xbe903f40, v93
	v_add_f32_e32 v1, v9, v1
	global_inv scope:SCOPE_SE
	v_dual_add_f32 v5, v9, v5 :: v_dual_add_f32 v38, v14, v24
	v_sub_f32_e32 v41, v25, v15
	v_fma_f32 v0, 0x3ed4b147, v36, -v44
	v_mul_f32_e32 v53, 0xbe11bafb, v42
	v_sub_f32_e32 v39, v24, v14
	v_fma_f32 v4, 0xbf27a4f4, v36, -v54
	v_mul_f32_e32 v52, 0xbf4178ce, v41
	v_add_f32_e32 v0, v8, v0
	v_dual_mul_f32 v50, 0xbf7d64f0, v40 :: v_dual_fmamk_f32 v3, v37, 0xbf7d64f0, v53
	s_delay_alu instid0(VALU_DEP_4) | instskip(NEXT) | instid1(VALU_DEP_4)
	v_add_f32_e32 v4, v8, v4
	v_fma_f32 v7, 0xbf27a4f4, v38, -v52
	v_add_f32_e32 v60, v13, v27
	s_delay_alu instid0(VALU_DEP_4) | instskip(SKIP_1) | instid1(VALU_DEP_4)
	v_fma_f32 v2, 0xbe11bafb, v36, -v50
	v_dual_add_f32 v3, v9, v3 :: v_dual_mul_f32 v62, 0x3e903f40, v41
	v_add_f32_e32 v0, v7, v0
	s_delay_alu instid0(VALU_DEP_3) | instskip(SKIP_1) | instid1(VALU_DEP_4)
	v_dual_mul_f32 v95, 0xbf27a4f4, v60 :: v_dual_add_f32 v2, v8, v2
	v_add_f32_e32 v64, v19, v21
	v_fma_f32 v45, 0xbf75a155, v38, -v62
	v_dual_mul_f32 v71, 0xbe903f40, v40 :: v_dual_add_f32 v68, v17, v23
	s_delay_alu instid0(VALU_DEP_3) | instskip(NEXT) | instid1(VALU_DEP_3)
	v_mul_f32_e32 v78, 0x3f575c64, v64
	v_add_f32_e32 v2, v45, v2
	s_delay_alu instid0(VALU_DEP_3)
	v_fma_f32 v6, 0xbf75a155, v36, -v71
	v_add_f32_e32 v47, v15, v25
	v_mul_f32_e32 v85, 0xbf75a155, v64
	v_mul_f32_e32 v88, 0x3ed4b147, v68
	;; [unrolled: 1-line block ×3, first 2 shown]
	v_add_f32_e32 v6, v8, v6
	v_mul_f32_e32 v56, 0xbf27a4f4, v47
	v_mul_f32_e32 v63, 0xbf75a155, v47
	;; [unrolled: 1-line block ×5, first 2 shown]
	v_fmamk_f32 v43, v39, 0xbf4178ce, v56
	v_fmamk_f32 v48, v39, 0x3e903f40, v63
	;; [unrolled: 1-line block ×3, first 2 shown]
	v_fma_f32 v7, 0xbe11bafb, v38, -v66
	v_mul_f32_e32 v79, 0x3f0a6770, v41
	v_add_f32_e32 v1, v43, v1
	v_add_f32_e32 v43, v12, v26
	s_delay_alu instid0(VALU_DEP_4)
	v_dual_add_f32 v3, v48, v3 :: v_dual_add_f32 v4, v7, v4
	v_sub_f32_e32 v48, v27, v13
	v_fma_f32 v49, 0x3f575c64, v38, -v79
	v_add_f32_e32 v5, v45, v5
	v_sub_f32_e32 v45, v26, v12
	v_mul_f32_e32 v72, 0x3ed4b147, v60
	v_mul_f32_e32 v58, 0x3e903f40, v48
	v_add_f32_e32 v6, v49, v6
	v_mul_f32_e32 v70, 0x3f68dda4, v48
	v_mul_f32_e32 v84, 0xbf4178ce, v48
	v_fmamk_f32 v51, v45, 0x3f68dda4, v72
	v_fma_f32 v7, 0xbf75a155, v43, -v58
	v_mul_f32_e32 v75, 0xbf0a6770, v48
	v_fma_f32 v49, 0x3ed4b147, v43, -v70
	v_mul_f32_e32 v67, 0xbf75a155, v60
	v_dual_add_f32 v3, v51, v3 :: v_dual_mul_f32 v92, 0x3ed4b147, v64
	s_delay_alu instid0(VALU_DEP_4) | instskip(NEXT) | instid1(VALU_DEP_4)
	v_fma_f32 v55, 0x3f575c64, v43, -v75
	v_add_f32_e32 v2, v49, v2
	s_delay_alu instid0(VALU_DEP_4) | instskip(NEXT) | instid1(VALU_DEP_3)
	v_dual_add_f32 v0, v7, v0 :: v_dual_fmamk_f32 v7, v45, 0x3e903f40, v67
	v_add_f32_e32 v4, v55, v4
	s_delay_alu instid0(VALU_DEP_2) | instskip(SKIP_1) | instid1(VALU_DEP_1)
	v_add_f32_e32 v1, v7, v1
	v_fma_f32 v7, 0xbf27a4f4, v43, -v84
	v_dual_mul_f32 v81, 0x3f575c64, v60 :: v_dual_add_f32 v6, v7, v6
	s_delay_alu instid0(VALU_DEP_1) | instskip(NEXT) | instid1(VALU_DEP_1)
	v_fmamk_f32 v57, v45, 0xbf0a6770, v81
	v_add_f32_e32 v5, v57, v5
	v_sub_f32_e32 v57, v21, v19
	v_add_f32_e32 v49, v18, v20
	s_delay_alu instid0(VALU_DEP_2) | instskip(NEXT) | instid1(VALU_DEP_1)
	v_mul_f32_e32 v69, 0x3f7d64f0, v57
	v_fma_f32 v55, 0xbe11bafb, v49, -v69
	s_delay_alu instid0(VALU_DEP_1) | instskip(SKIP_2) | instid1(VALU_DEP_2)
	v_add_f32_e32 v0, v55, v0
	v_dual_mul_f32 v76, 0xbf0a6770, v57 :: v_dual_add_f32 v55, v16, v22
	v_mul_f32_e32 v83, 0xbe903f40, v57
	v_fma_f32 v65, 0x3f575c64, v49, -v76
	s_delay_alu instid0(VALU_DEP_1) | instskip(SKIP_3) | instid1(VALU_DEP_3)
	v_add_f32_e32 v89, v65, v2
	v_sub_f32_e32 v65, v23, v17
	v_sub_f32_e32 v51, v20, v18
	v_fma_f32 v2, 0xbf75a155, v49, -v83
	v_mul_f32_e32 v74, 0x3f0a6770, v65
	v_mul_f32_e32 v82, 0xbf4178ce, v65
	s_delay_alu instid0(VALU_DEP_3) | instskip(NEXT) | instid1(VALU_DEP_3)
	v_dual_add_f32 v4, v2, v4 :: v_dual_fmamk_f32 v99, v51, 0x3f68dda4, v92
	v_fma_f32 v86, 0x3f575c64, v55, -v74
	s_delay_alu instid0(VALU_DEP_3) | instskip(SKIP_1) | instid1(VALU_DEP_3)
	v_fma_f32 v90, 0xbf27a4f4, v55, -v82
	v_mul_f32_e32 v73, 0xbe11bafb, v64
	v_dual_fmamk_f32 v7, v51, 0xbf0a6770, v78 :: v_dual_add_f32 v2, v86, v0
	v_mul_f32_e32 v86, 0xbf27a4f4, v68
	s_delay_alu instid0(VALU_DEP_3) | instskip(NEXT) | instid1(VALU_DEP_3)
	v_fmamk_f32 v59, v51, 0x3f7d64f0, v73
	v_add_f32_e32 v7, v7, v3
	s_delay_alu instid0(VALU_DEP_2) | instskip(SKIP_1) | instid1(VALU_DEP_1)
	v_add_f32_e32 v1, v59, v1
	v_sub_f32_e32 v59, v22, v16
	v_dual_mul_f32 v87, 0x3f68dda4, v65 :: v_dual_fmamk_f32 v100, v59, 0x3f68dda4, v88
	v_fmamk_f32 v0, v59, 0x3f0a6770, v80
	s_delay_alu instid0(VALU_DEP_2) | instskip(SKIP_2) | instid1(VALU_DEP_2)
	v_fma_f32 v97, 0x3ed4b147, v55, -v87
	v_fmamk_f32 v3, v51, 0xbe903f40, v85
	v_fmamk_f32 v96, v59, 0xbf4178ce, v86
	v_add_f32_e32 v5, v3, v5
	v_add_f32_e32 v3, v0, v1
	;; [unrolled: 1-line block ×3, first 2 shown]
	v_dual_fmamk_f32 v91, v39, 0x3f0a6770, v94 :: v_dual_add_f32 v0, v90, v89
	v_mul_f32_e32 v90, 0xbf7d64f0, v65
	v_mul_f32_e32 v89, 0x3f68dda4, v57
	s_delay_alu instid0(VALU_DEP_3) | instskip(SKIP_1) | instid1(VALU_DEP_4)
	v_add_f32_e32 v1, v91, v1
	v_fmamk_f32 v91, v45, 0xbf4178ce, v95
	v_fma_f32 v101, 0xbe11bafb, v55, -v90
	s_delay_alu instid0(VALU_DEP_4) | instskip(NEXT) | instid1(VALU_DEP_3)
	v_fma_f32 v98, 0x3ed4b147, v49, -v89
	v_add_f32_e32 v1, v91, v1
	s_delay_alu instid0(VALU_DEP_2) | instskip(NEXT) | instid1(VALU_DEP_2)
	v_dual_mul_f32 v91, 0xbe11bafb, v68 :: v_dual_add_f32 v98, v98, v6
	v_dual_add_f32 v6, v97, v4 :: v_dual_add_f32 v99, v99, v1
	s_delay_alu instid0(VALU_DEP_2) | instskip(NEXT) | instid1(VALU_DEP_3)
	v_dual_fmamk_f32 v102, v59, 0xbf7d64f0, v91 :: v_dual_add_f32 v1, v96, v7
	v_dual_add_f32 v7, v100, v5 :: v_dual_add_f32 v4, v101, v98
	s_delay_alu instid0(VALU_DEP_2)
	v_add_f32_e32 v5, v102, v99
	v_cmpx_gt_u32_e32 60, v28
	s_cbranch_execz .LBB0_13
; %bb.12:
	v_mul_f32_e32 v103, 0xbe903f40, v37
	v_mul_f32_e32 v96, 0x3ed4b147, v36
	v_dual_mul_f32 v102, 0xbf75a155, v36 :: v_dual_mul_f32 v111, 0xbf75a155, v43
	v_dual_mul_f32 v110, 0x3f575c64, v38 :: v_dual_mul_f32 v115, 0x3f575c64, v43
	s_delay_alu instid0(VALU_DEP_4) | instskip(SKIP_4) | instid1(VALU_DEP_4)
	v_sub_f32_e32 v93, v93, v103
	v_mul_f32_e32 v103, 0x3f0a6770, v39
	v_mul_f32_e32 v97, 0xbf68dda4, v37
	;; [unrolled: 1-line block ×3, first 2 shown]
	v_dual_mul_f32 v114, 0x3f68dda4, v45 :: v_dual_add_f32 v71, v102, v71
	v_dual_add_f32 v93, v9, v93 :: v_dual_sub_f32 v94, v94, v103
	v_mul_f32_e32 v100, 0xbf27a4f4, v36
	v_mul_f32_e32 v118, 0x3f68dda4, v51
	;; [unrolled: 1-line block ×3, first 2 shown]
	s_delay_alu instid0(VALU_DEP_4) | instskip(NEXT) | instid1(VALU_DEP_4)
	v_dual_mul_f32 v104, 0xbf27a4f4, v38 :: v_dual_add_f32 v93, v94, v93
	v_dual_add_f32 v54, v100, v54 :: v_dual_mul_f32 v103, 0xbf4178ce, v45
	v_dual_mul_f32 v116, 0xbf0a6770, v45 :: v_dual_add_f32 v79, v110, v79
	v_sub_f32_e32 v92, v92, v118
	s_delay_alu instid0(VALU_DEP_3) | instskip(NEXT) | instid1(VALU_DEP_4)
	v_dual_add_f32 v54, v8, v54 :: v_dual_mul_f32 v99, 0xbf7d64f0, v37
	v_sub_f32_e32 v94, v95, v103
	v_mul_f32_e32 v106, 0xbf75a155, v38
	v_mul_f32_e32 v95, 0xbf27a4f4, v43
	;; [unrolled: 1-line block ×3, first 2 shown]
	v_add_f32_e32 v71, v8, v71
	v_add_f32_e32 v93, v94, v93
	v_mul_f32_e32 v94, 0x3f575c64, v49
	v_mul_f32_e32 v113, 0x3ed4b147, v43
	v_dual_mul_f32 v102, 0xbf0a6770, v51 :: v_dual_sub_f32 v91, v91, v118
	v_dual_mul_f32 v110, 0xbf75a155, v49 :: v_dual_add_f32 v71, v79, v71
	v_mul_f32_e32 v118, 0x3ed4b147, v49
	v_dual_add_f32 v84, v95, v84 :: v_dual_mul_f32 v105, 0xbf4178ce, v39
	v_add_f32_e32 v92, v92, v93
	v_dual_mul_f32 v108, 0xbe11bafb, v38 :: v_dual_mul_f32 v103, 0xbe11bafb, v49
	v_mul_f32_e32 v109, 0x3f7d64f0, v39
	v_dual_mul_f32 v79, 0x3f575c64, v55 :: v_dual_add_f32 v50, v98, v50
	v_sub_f32_e32 v61, v61, v101
	v_dual_add_f32 v71, v84, v71 :: v_dual_sub_f32 v46, v46, v97
	v_dual_add_f32 v89, v118, v89 :: v_dual_mul_f32 v118, 0xbe11bafb, v55
	v_dual_mul_f32 v117, 0x3f7d64f0, v51 :: v_dual_add_f32 v66, v108, v66
	v_dual_mul_f32 v95, 0xbf27a4f4, v55 :: v_dual_add_f32 v50, v8, v50
	v_dual_add_f32 v61, v9, v61 :: v_dual_mul_f32 v84, 0x3ed4b147, v55
	s_delay_alu instid0(VALU_DEP_4)
	v_add_f32_e32 v71, v89, v71
	v_dual_add_f32 v89, v118, v90 :: v_dual_sub_f32 v56, v56, v105
	v_dual_add_f32 v90, v91, v92 :: v_dual_sub_f32 v77, v77, v109
	v_dual_mul_f32 v93, 0xbe903f40, v51 :: v_dual_add_f32 v54, v66, v54
	v_add_f32_e32 v66, v115, v75
	v_dual_mul_f32 v107, 0x3e903f40, v39 :: v_dual_mul_f32 v112, 0x3e903f40, v45
	s_delay_alu instid0(VALU_DEP_4) | instskip(NEXT) | instid1(VALU_DEP_3)
	v_add_f32_e32 v61, v77, v61
	v_dual_mul_f32 v101, 0x3f0a6770, v59 :: v_dual_add_f32 v54, v66, v54
	v_dual_mul_f32 v109, 0xbf4178ce, v59 :: v_dual_add_f32 v62, v106, v62
	v_dual_sub_f32 v81, v81, v116 :: v_dual_add_f32 v66, v110, v83
	v_mul_f32_e32 v77, 0x3f68dda4, v59
	v_sub_f32_e32 v53, v53, v99
	v_dual_sub_f32 v63, v63, v107 :: v_dual_add_f32 v46, v9, v46
	s_delay_alu instid0(VALU_DEP_4)
	v_add_f32_e32 v54, v66, v54
	v_dual_add_f32 v50, v62, v50 :: v_dual_add_f32 v89, v89, v71
	v_dual_sub_f32 v71, v88, v77 :: v_dual_add_f32 v62, v113, v70
	v_add_f32_e32 v61, v81, v61
	v_dual_sub_f32 v81, v85, v93 :: v_dual_add_f32 v66, v94, v76
	v_add_f32_e32 v46, v56, v46
	s_delay_alu instid0(VALU_DEP_4) | instskip(NEXT) | instid1(VALU_DEP_3)
	v_add_f32_e32 v50, v62, v50
	v_dual_sub_f32 v56, v67, v112 :: v_dual_add_f32 v61, v81, v61
	v_dual_add_f32 v70, v84, v87 :: v_dual_add_f32 v77, v9, v53
	s_delay_alu instid0(VALU_DEP_3) | instskip(NEXT) | instid1(VALU_DEP_3)
	v_add_f32_e32 v50, v66, v50
	v_dual_add_f32 v44, v96, v44 :: v_dual_add_f32 v53, v71, v61
	s_delay_alu instid0(VALU_DEP_3) | instskip(SKIP_4) | instid1(VALU_DEP_4)
	v_dual_add_f32 v46, v56, v46 :: v_dual_add_f32 v61, v63, v77
	v_dual_sub_f32 v63, v72, v114 :: v_dual_sub_f32 v56, v73, v117
	v_mul_f32_e32 v47, 0x3ed4b147, v47
	v_add_f32_e32 v11, v9, v11
	v_mul_f32_e32 v41, 0xbf68dda4, v41
	v_add_f32_e32 v61, v63, v61
	v_sub_f32_e32 v63, v78, v102
	s_delay_alu instid0(VALU_DEP_4) | instskip(NEXT) | instid1(VALU_DEP_2)
	v_dual_add_f32 v46, v56, v46 :: v_dual_add_f32 v11, v11, v25
	v_add_f32_e32 v61, v63, v61
	v_sub_f32_e32 v63, v86, v109
	s_delay_alu instid0(VALU_DEP_3) | instskip(NEXT) | instid1(VALU_DEP_2)
	v_add_f32_e32 v11, v11, v27
	v_dual_mul_f32 v27, 0xbf75a155, v68 :: v_dual_add_f32 v62, v63, v61
	v_dual_mul_f32 v63, 0x3f575c64, v42 :: v_dual_add_f32 v42, v8, v44
	v_dual_add_f32 v44, v104, v52 :: v_dual_add_f32 v61, v95, v82
	v_sub_f32_e32 v52, v80, v101
	v_dual_add_f32 v11, v11, v21 :: v_dual_mul_f32 v40, 0xbf0a6770, v40
	s_delay_alu instid0(VALU_DEP_3) | instskip(SKIP_4) | instid1(VALU_DEP_4)
	v_add_f32_e32 v42, v44, v42
	v_add_f32_e32 v44, v111, v58
	v_dual_fmamk_f32 v56, v39, 0x3f68dda4, v47 :: v_dual_add_f32 v61, v61, v50
	v_fmamk_f32 v50, v37, 0x3f0a6770, v63
	v_mul_f32_e32 v58, 0xbe11bafb, v60
	v_add_f32_e32 v44, v44, v42
	v_dual_add_f32 v42, v52, v46 :: v_dual_add_f32 v23, v11, v23
	s_delay_alu instid0(VALU_DEP_4) | instskip(SKIP_2) | instid1(VALU_DEP_3)
	v_add_f32_e32 v50, v9, v50
	v_mul_f32_e32 v52, 0xbf27a4f4, v64
	v_dual_add_f32 v10, v8, v10 :: v_dual_fmac_f32 v47, 0xbf68dda4, v39
	v_dual_add_f32 v17, v23, v17 :: v_dual_add_f32 v46, v56, v50
	v_fmamk_f32 v50, v45, 0x3f7d64f0, v58
	v_fmamk_f32 v64, v38, 0x3ed4b147, v41
	v_mul_f32_e32 v21, 0xbe903f40, v65
	s_delay_alu instid0(VALU_DEP_4) | instskip(NEXT) | instid1(VALU_DEP_4)
	v_add_f32_e32 v17, v17, v19
	v_dual_fmac_f32 v63, 0xbf0a6770, v37 :: v_dual_add_f32 v46, v50, v46
	v_fmamk_f32 v50, v36, 0x3f575c64, v40
	v_fmac_f32_e32 v58, 0xbf7d64f0, v45
	s_delay_alu instid0(VALU_DEP_4) | instskip(NEXT) | instid1(VALU_DEP_3)
	v_dual_add_f32 v13, v17, v13 :: v_dual_mul_f32 v48, 0xbf7d64f0, v48
	v_dual_add_f32 v9, v9, v63 :: v_dual_add_f32 v50, v8, v50
	s_delay_alu instid0(VALU_DEP_2) | instskip(NEXT) | instid1(VALU_DEP_2)
	v_dual_add_f32 v60, v103, v69 :: v_dual_add_f32 v13, v13, v15
	v_dual_add_f32 v10, v10, v24 :: v_dual_add_f32 v9, v47, v9
	s_delay_alu instid0(VALU_DEP_3) | instskip(NEXT) | instid1(VALU_DEP_3)
	v_add_f32_e32 v25, v64, v50
	v_add_f32_e32 v44, v60, v44
	v_fmamk_f32 v60, v51, 0x3f4178ce, v52
	s_delay_alu instid0(VALU_DEP_4) | instskip(SKIP_1) | instid1(VALU_DEP_3)
	v_add_f32_e32 v10, v10, v26
	v_fmac_f32_e32 v52, 0xbf4178ce, v51
	v_add_f32_e32 v24, v60, v46
	s_delay_alu instid0(VALU_DEP_3) | instskip(NEXT) | instid1(VALU_DEP_1)
	v_add_f32_e32 v10, v10, v20
	v_add_f32_e32 v10, v10, v22
	v_fmamk_f32 v22, v55, 0xbf75a155, v21
	s_delay_alu instid0(VALU_DEP_2) | instskip(NEXT) | instid1(VALU_DEP_1)
	v_add_f32_e32 v16, v10, v16
	v_add_f32_e32 v16, v16, v18
	v_fma_f32 v18, 0x3ed4b147, v38, -v41
	s_delay_alu instid0(VALU_DEP_2) | instskip(SKIP_2) | instid1(VALU_DEP_3)
	v_add_f32_e32 v12, v16, v12
	v_fma_f32 v16, 0xbe11bafb, v43, -v48
	v_fmamk_f32 v46, v43, 0xbe11bafb, v48
	v_add_f32_e32 v12, v12, v14
	v_add_f32_e32 v14, v58, v9
	s_delay_alu instid0(VALU_DEP_3) | instskip(SKIP_3) | instid1(VALU_DEP_2)
	v_dual_add_f32 v25, v46, v25 :: v_dual_fmamk_f32 v46, v59, 0x3e903f40, v27
	v_fmac_f32_e32 v27, 0xbe903f40, v59
	v_mul_f32_e32 v26, 0xbf4178ce, v57
	v_dual_add_f32 v9, v13, v33 :: v_dual_add_f32 v56, v79, v74
	v_dual_add_f32 v11, v46, v24 :: v_dual_fmamk_f32 v20, v49, 0xbf27a4f4, v26
	s_delay_alu instid0(VALU_DEP_2) | instskip(NEXT) | instid1(VALU_DEP_2)
	v_add_f32_e32 v41, v56, v44
	v_add_f32_e32 v20, v20, v25
	s_delay_alu instid0(VALU_DEP_1) | instskip(SKIP_1) | instid1(VALU_DEP_1)
	v_add_f32_e32 v10, v22, v20
	v_fma_f32 v20, 0x3f575c64, v36, -v40
	v_add_f32_e32 v8, v8, v20
	s_delay_alu instid0(VALU_DEP_1) | instskip(NEXT) | instid1(VALU_DEP_1)
	v_add_f32_e32 v8, v18, v8
	v_add_f32_e32 v15, v16, v8
	v_add_f32_e32 v8, v12, v32
	v_add_f32_e32 v12, v52, v14
	s_delay_alu instid0(VALU_DEP_1) | instskip(SKIP_1) | instid1(VALU_DEP_1)
	v_dual_add_f32 v52, v70, v54 :: v_dual_add_f32 v13, v27, v12
	v_fma_f32 v16, 0xbf27a4f4, v49, -v26
	v_add_f32_e32 v14, v16, v15
	v_fma_f32 v15, 0xbf75a155, v55, -v21
	v_mad_u32_u24 v16, 0x50, v28, v34
	s_delay_alu instid0(VALU_DEP_2)
	v_add_f32_e32 v12, v15, v14
	ds_store_2addr_b64 v16, v[8:9], v[10:11] offset1:1
	ds_store_2addr_b64 v16, v[41:42], v[61:62] offset0:2 offset1:3
	ds_store_2addr_b64 v16, v[52:53], v[89:90] offset0:4 offset1:5
	;; [unrolled: 1-line block ×4, first 2 shown]
	ds_store_b64 v16, v[12:13] offset:80
.LBB0_13:
	s_wait_alu 0xfffe
	s_or_b32 exec_lo, exec_lo, s1
	v_and_b32_e32 v8, 0xff, v28
	global_wb scope:SCOPE_SE
	s_wait_dscnt 0x0
	s_barrier_signal -1
	s_barrier_wait -1
	global_inv scope:SCOPE_SE
	v_mul_lo_u16 v8, 0x75, v8
	v_cmp_gt_u32_e64 s0, 0x42, v28
	s_delay_alu instid0(VALU_DEP_2) | instskip(NEXT) | instid1(VALU_DEP_1)
	v_lshrrev_b16 v8, 8, v8
	v_sub_nc_u16 v9, v28, v8
	s_delay_alu instid0(VALU_DEP_1) | instskip(NEXT) | instid1(VALU_DEP_1)
	v_lshrrev_b16 v9, 1, v9
	v_and_b32_e32 v9, 0x7f, v9
	s_delay_alu instid0(VALU_DEP_1) | instskip(NEXT) | instid1(VALU_DEP_1)
	v_add_nc_u16 v8, v9, v8
	v_lshrrev_b16 v36, 3, v8
	s_delay_alu instid0(VALU_DEP_1) | instskip(NEXT) | instid1(VALU_DEP_1)
	v_mul_lo_u16 v8, v36, 11
	v_sub_nc_u16 v8, v28, v8
	s_delay_alu instid0(VALU_DEP_1) | instskip(NEXT) | instid1(VALU_DEP_1)
	v_and_b32_e32 v37, 0xff, v8
	v_mul_u32_u24_e32 v8, 5, v37
	s_delay_alu instid0(VALU_DEP_1)
	v_lshlrev_b32_e32 v16, 3, v8
	s_clause 0x2
	global_load_b128 v[8:11], v16, s[4:5]
	global_load_b128 v[12:15], v16, s[4:5] offset:16
	global_load_b64 v[32:33], v16, s[4:5] offset:32
	ds_load_2addr_b64 v[16:19], v34 offset1:110
	ds_load_2addr_b64 v[20:23], v35 offset0:92 offset1:202
	ds_load_2addr_b64 v[24:27], v29 offset0:56 offset1:166
	v_and_b32_e32 v29, 0xffff, v36
	global_wb scope:SCOPE_SE
	s_wait_loadcnt_dscnt 0x0
	s_barrier_signal -1
	s_barrier_wait -1
	global_inv scope:SCOPE_SE
	v_mul_f32_e32 v36, v11, v21
	v_mul_f32_e32 v38, v15, v25
	v_mul_u32_u24_e32 v29, 0x210, v29
	v_lshlrev_b32_e32 v35, 3, v37
	v_mul_f32_e32 v11, v11, v20
	v_dual_fmac_f32 v36, v10, v20 :: v_dual_mul_f32 v37, v13, v23
	v_fmac_f32_e32 v38, v14, v24
	s_delay_alu instid0(VALU_DEP_4) | instskip(SKIP_2) | instid1(VALU_DEP_2)
	v_add3_u32 v29, 0, v29, v35
	v_mul_f32_e32 v35, v9, v19
	v_mul_f32_e32 v9, v9, v18
	v_fmac_f32_e32 v35, v8, v18
	s_delay_alu instid0(VALU_DEP_2)
	v_fma_f32 v18, v8, v19, -v9
	v_sub_f32_e32 v19, v36, v38
	v_fmac_f32_e32 v37, v12, v22
	v_mul_f32_e32 v13, v13, v22
	v_fma_f32 v8, v10, v21, -v11
	v_mul_f32_e32 v15, v15, v24
	s_delay_alu instid0(VALU_DEP_4) | instskip(NEXT) | instid1(VALU_DEP_4)
	v_add_f32_e32 v20, v35, v37
	v_fma_f32 v9, v12, v23, -v13
	v_dual_add_f32 v12, v16, v36 :: v_dual_mul_f32 v39, v33, v27
	v_mul_f32_e32 v33, v33, v26
	v_fma_f32 v10, v14, v25, -v15
	s_delay_alu instid0(VALU_DEP_3) | instskip(NEXT) | instid1(VALU_DEP_3)
	v_dual_add_f32 v23, v18, v9 :: v_dual_add_f32 v12, v12, v38
	v_fma_f32 v11, v32, v27, -v33
	s_delay_alu instid0(VALU_DEP_3) | instskip(SKIP_1) | instid1(VALU_DEP_3)
	v_dual_sub_f32 v14, v8, v10 :: v_dual_add_f32 v15, v17, v8
	v_add_f32_e32 v8, v8, v10
	v_sub_f32_e32 v22, v9, v11
	v_add_f32_e32 v9, v9, v11
	s_delay_alu instid0(VALU_DEP_1) | instskip(NEXT) | instid1(VALU_DEP_4)
	v_dual_fmac_f32 v18, -0.5, v9 :: v_dual_fmac_f32 v39, v32, v26
	v_fma_f32 v26, -0.5, v8, v17
	s_delay_alu instid0(VALU_DEP_1) | instskip(SKIP_1) | instid1(VALU_DEP_4)
	v_fmamk_f32 v17, v19, 0x3f5db3d7, v26
	v_dual_fmac_f32 v26, 0xbf5db3d7, v19 :: v_dual_add_f32 v13, v36, v38
	v_sub_f32_e32 v24, v37, v39
	s_delay_alu instid0(VALU_DEP_2) | instskip(NEXT) | instid1(VALU_DEP_1)
	v_fma_f32 v25, -0.5, v13, v16
	v_fmamk_f32 v16, v14, 0xbf5db3d7, v25
	s_delay_alu instid0(VALU_DEP_3) | instskip(SKIP_2) | instid1(VALU_DEP_3)
	v_dual_fmac_f32 v25, 0x3f5db3d7, v14 :: v_dual_fmamk_f32 v14, v24, 0x3f5db3d7, v18
	v_dual_fmac_f32 v18, 0xbf5db3d7, v24 :: v_dual_add_f32 v21, v37, v39
	v_dual_add_f32 v10, v15, v10 :: v_dual_add_f32 v13, v20, v39
	v_mul_f32_e32 v19, 0xbf5db3d7, v14
	s_delay_alu instid0(VALU_DEP_3) | instskip(SKIP_1) | instid1(VALU_DEP_4)
	v_dual_mul_f32 v20, 0xbf5db3d7, v18 :: v_dual_fmac_f32 v35, -0.5, v21
	v_mul_f32_e32 v21, 0.5, v14
	v_dual_add_f32 v11, v23, v11 :: v_dual_sub_f32 v14, v12, v13
	s_delay_alu instid0(VALU_DEP_3) | instskip(SKIP_2) | instid1(VALU_DEP_2)
	v_dual_add_f32 v8, v12, v13 :: v_dual_fmamk_f32 v15, v22, 0xbf5db3d7, v35
	v_fmac_f32_e32 v35, 0x3f5db3d7, v22
	v_mul_f32_e32 v22, -0.5, v18
	v_fmac_f32_e32 v20, -0.5, v35
	s_delay_alu instid0(VALU_DEP_2) | instskip(NEXT) | instid1(VALU_DEP_2)
	v_fmac_f32_e32 v22, 0x3f5db3d7, v35
	v_dual_add_f32 v9, v10, v11 :: v_dual_sub_f32 v18, v25, v20
	v_dual_add_f32 v12, v25, v20 :: v_dual_fmac_f32 v19, 0.5, v15
	v_fmac_f32_e32 v21, 0x3f5db3d7, v15
	v_sub_f32_e32 v15, v10, v11
	s_delay_alu instid0(VALU_DEP_3) | instskip(NEXT) | instid1(VALU_DEP_3)
	v_dual_add_f32 v13, v26, v22 :: v_dual_add_f32 v10, v16, v19
	v_dual_add_f32 v11, v17, v21 :: v_dual_sub_f32 v16, v16, v19
	v_sub_f32_e32 v17, v17, v21
	v_sub_f32_e32 v19, v26, v22
	ds_store_2addr_b64 v29, v[8:9], v[10:11] offset1:11
	ds_store_2addr_b64 v29, v[12:13], v[14:15] offset0:22 offset1:33
	ds_store_2addr_b64 v29, v[16:17], v[18:19] offset0:44 offset1:55
	global_wb scope:SCOPE_SE
	s_wait_dscnt 0x0
	s_barrier_signal -1
	s_barrier_wait -1
	global_inv scope:SCOPE_SE
	s_and_saveexec_b32 s1, s0
	s_cbranch_execz .LBB0_15
; %bb.14:
	v_add_nc_u32_e32 v0, 0x800, v34
	v_add_nc_u32_e32 v1, 0x1000, v34
	ds_load_2addr_b64 v[8:11], v34 offset1:66
	ds_load_2addr_b64 v[12:15], v34 offset0:132 offset1:198
	ds_load_2addr_b64 v[16:19], v0 offset0:8 offset1:74
	;; [unrolled: 1-line block ×4, first 2 shown]
.LBB0_15:
	s_wait_alu 0xfffe
	s_or_b32 exec_lo, exec_lo, s1
	global_wb scope:SCOPE_SE
	s_wait_dscnt 0x0
	s_barrier_signal -1
	s_barrier_wait -1
	global_inv scope:SCOPE_SE
	s_and_saveexec_b32 s1, s0
	s_cbranch_execz .LBB0_17
; %bb.16:
	v_dual_mov_b32 v21, 0 :: v_dual_add_nc_u32 v20, 0xffffffbe, v28
	s_delay_alu instid0(VALU_DEP_1) | instskip(NEXT) | instid1(VALU_DEP_1)
	v_cndmask_b32_e64 v20, v20, v28, s0
	v_mul_i32_i24_e32 v20, 9, v20
	s_delay_alu instid0(VALU_DEP_1) | instskip(NEXT) | instid1(VALU_DEP_1)
	v_lshlrev_b64_e32 v[20:21], 3, v[20:21]
	v_add_co_u32 v32, s0, s4, v20
	s_wait_alu 0xf1ff
	s_delay_alu instid0(VALU_DEP_2)
	v_add_co_ci_u32_e64 v33, s0, s5, v21, s0
	s_clause 0x4
	global_load_b128 v[20:23], v[32:33], off offset:440
	global_load_b128 v[24:27], v[32:33], off offset:456
	global_load_b128 v[35:38], v[32:33], off offset:488
	global_load_b128 v[39:42], v[32:33], off offset:472
	global_load_b64 v[32:33], v[32:33], off offset:504
	v_add_nc_u32_e32 v29, 0x800, v34
	s_wait_loadcnt 0x4
	v_dual_mul_f32 v44, v12, v23 :: v_dual_add_nc_u32 v43, 0x1000, v34
	s_wait_loadcnt 0x3
	v_dual_mul_f32 v48, v15, v25 :: v_dual_mul_f32 v45, v16, v27
	s_wait_loadcnt 0x2
	v_dual_mul_f32 v46, v0, v38 :: v_dual_mul_f32 v23, v13, v23
	;; [unrolled: 2-line block ×3, first 2 shown]
	v_mul_f32_e32 v38, v1, v38
	v_dual_mul_f32 v27, v17, v27 :: v_dual_mul_f32 v52, v11, v21
	v_dual_mul_f32 v42, v5, v42 :: v_dual_mul_f32 v49, v19, v40
	s_delay_alu instid0(VALU_DEP_3)
	v_dual_mul_f32 v51, v7, v36 :: v_dual_fmac_f32 v38, v0, v37
	v_dual_mul_f32 v40, v18, v40 :: v_dual_fmac_f32 v23, v12, v22
	v_mul_f32_e32 v25, v14, v25
	v_dual_mul_f32 v36, v6, v36 :: v_dual_fmac_f32 v27, v16, v26
	v_dual_fmac_f32 v42, v4, v41 :: v_dual_fmac_f32 v49, v18, v39
	v_mul_f32_e32 v33, v2, v33
	v_fma_f32 v13, v13, v22, -v44
	v_fma_f32 v17, v17, v26, -v45
	;; [unrolled: 1-line block ×4, first 2 shown]
	v_fmac_f32_e32 v48, v14, v24
	v_fmac_f32_e32 v50, v2, v32
	;; [unrolled: 1-line block ×3, first 2 shown]
	v_mul_f32_e32 v21, v10, v21
	v_fma_f32 v4, v7, v35, -v36
	v_sub_f32_e32 v12, v23, v38
	v_fma_f32 v0, v15, v24, -v25
	v_sub_f32_e32 v14, v27, v42
	v_fma_f32 v2, v3, v32, -v33
	v_fma_f32 v3, v19, v39, -v40
	v_dual_sub_f32 v7, v13, v17 :: v_dual_fmac_f32 v52, v10, v20
	v_sub_f32_e32 v15, v48, v49
	v_sub_f32_e32 v10, v1, v5
	v_add_f32_e32 v18, v49, v51
	v_fma_f32 v6, v11, v20, -v21
	v_dual_add_f32 v11, v17, v5 :: v_dual_sub_f32 v16, v50, v51
	v_dual_sub_f32 v19, v0, v2 :: v_dual_add_f32 v24, v3, v4
	v_dual_sub_f32 v33, v5, v1 :: v_dual_add_f32 v44, v0, v2
	v_dual_add_f32 v45, v9, v13 :: v_dual_sub_f32 v20, v3, v4
	v_dual_sub_f32 v21, v0, v3 :: v_dual_sub_f32 v22, v2, v4
	v_dual_sub_f32 v25, v48, v50 :: v_dual_sub_f32 v26, v49, v51
	v_dual_sub_f32 v37, v51, v50 :: v_dual_sub_f32 v32, v17, v13
	v_add_f32_e32 v39, v48, v50
	v_dual_add_f32 v35, v13, v1 :: v_dual_sub_f32 v40, v3, v0
	v_dual_sub_f32 v36, v49, v48 :: v_dual_sub_f32 v41, v4, v2
	v_dual_add_f32 v0, v6, v0 :: v_dual_add_f32 v53, v27, v42
	v_dual_sub_f32 v13, v13, v1 :: v_dual_sub_f32 v56, v42, v38
	v_dual_sub_f32 v54, v17, v5 :: v_dual_sub_f32 v55, v27, v23
	v_add_f32_e32 v7, v7, v10
	v_fma_f32 v10, -0.5, v11, v9
	v_dual_add_f32 v11, v15, v16 :: v_dual_add_f32 v0, v0, v3
	v_fma_f32 v15, -0.5, v18, v52
	v_fma_f32 v18, -0.5, v24, v6
	;; [unrolled: 1-line block ×3, first 2 shown]
	v_dual_sub_f32 v46, v23, v27 :: v_dual_sub_f32 v47, v38, v42
	v_dual_add_f32 v57, v23, v38 :: v_dual_add_f32 v48, v52, v48
	v_dual_add_f32 v23, v8, v23 :: v_dual_add_f32 v16, v21, v22
	v_add_f32_e32 v21, v32, v33
	v_fma_f32 v22, -0.5, v35, v9
	v_dual_add_f32 v17, v45, v17 :: v_dual_fmamk_f32 v44, v26, 0x3f737871, v6
	v_fma_f32 v33, -0.5, v53, v8
	v_dual_add_f32 v35, v55, v56 :: v_dual_fmac_f32 v6, 0xbf737871, v26
	v_add_f32_e32 v9, v36, v37
	v_fma_f32 v24, -0.5, v39, v52
	v_add_f32_e32 v32, v40, v41
	v_fmamk_f32 v40, v14, 0x3f737871, v22
	v_fma_f32 v36, -0.5, v57, v8
	v_dual_fmamk_f32 v39, v25, 0xbf737871, v18 :: v_dual_add_f32 v0, v0, v4
	v_dual_fmac_f32 v18, 0x3f737871, v25 :: v_dual_fmamk_f32 v45, v13, 0x3f737871, v33
	v_add_f32_e32 v5, v17, v5
	v_dual_fmac_f32 v6, 0x3f167918, v25 :: v_dual_add_f32 v3, v46, v47
	v_fmac_f32_e32 v22, 0xbf737871, v14
	v_dual_add_f32 v8, v23, v27 :: v_dual_add_f32 v23, v48, v49
	v_fmamk_f32 v37, v19, 0x3f737871, v15
	v_dual_fmac_f32 v15, 0xbf737871, v19 :: v_dual_fmamk_f32 v46, v54, 0xbf737871, v36
	v_fmac_f32_e32 v36, 0x3f737871, v54
	v_dual_fmac_f32 v18, 0x3f167918, v26 :: v_dual_add_f32 v5, v5, v1
	v_fmac_f32_e32 v45, 0x3f167918, v54
	v_fmac_f32_e32 v6, 0x3e9e377a, v32
	v_fmamk_f32 v41, v20, 0xbf737871, v24
	v_fmac_f32_e32 v24, 0x3f737871, v20
	v_fmamk_f32 v27, v12, 0xbf737871, v10
	v_dual_fmac_f32 v33, 0xbf737871, v13 :: v_dual_add_f32 v4, v8, v42
	v_dual_add_f32 v8, v23, v51 :: v_dual_fmac_f32 v39, 0xbf167918, v26
	s_delay_alu instid0(VALU_DEP_3) | instskip(SKIP_2) | instid1(VALU_DEP_4)
	v_dual_fmac_f32 v44, 0xbf167918, v25 :: v_dual_fmac_f32 v27, 0xbf167918, v14
	v_fmac_f32_e32 v40, 0xbf167918, v12
	v_dual_fmac_f32 v24, 0xbf167918, v19 :: v_dual_fmac_f32 v15, 0xbf167918, v20
	v_dual_add_f32 v8, v8, v50 :: v_dual_fmac_f32 v39, 0x3e9e377a, v16
	s_delay_alu instid0(VALU_DEP_3) | instskip(SKIP_1) | instid1(VALU_DEP_4)
	v_fmac_f32_e32 v40, 0x3e9e377a, v21
	v_fmac_f32_e32 v10, 0x3f737871, v12
	v_dual_fmac_f32 v15, 0x3e9e377a, v11 :: v_dual_fmac_f32 v18, 0x3e9e377a, v16
	v_mul_f32_e32 v16, 0x3e9e377a, v6
	v_mul_f32_e32 v6, 0xbf737871, v6
	v_dual_fmac_f32 v41, 0x3f167918, v19 :: v_dual_fmac_f32 v22, 0x3f167918, v12
	v_dual_fmac_f32 v36, 0xbf167918, v13 :: v_dual_fmac_f32 v33, 0xbf167918, v54
	s_delay_alu instid0(VALU_DEP_2) | instskip(SKIP_3) | instid1(VALU_DEP_3)
	v_dual_fmac_f32 v44, 0x3e9e377a, v32 :: v_dual_fmac_f32 v41, 0x3e9e377a, v9
	v_fmac_f32_e32 v24, 0x3e9e377a, v9
	v_dual_fmac_f32 v37, 0x3f167918, v20 :: v_dual_fmac_f32 v10, 0x3f167918, v14
	v_dual_fmac_f32 v22, 0x3e9e377a, v21 :: v_dual_fmac_f32 v45, 0x3e9e377a, v3
	;; [unrolled: 1-line block ×3, first 2 shown]
	v_mul_f32_e32 v21, 0xbf737871, v44
	v_mul_f32_e32 v14, 0xbe9e377a, v44
	v_dual_add_f32 v4, v4, v38 :: v_dual_fmac_f32 v37, 0x3e9e377a, v11
	v_dual_add_f32 v2, v0, v2 :: v_dual_fmac_f32 v27, 0x3e9e377a, v7
	s_delay_alu instid0(VALU_DEP_4) | instskip(NEXT) | instid1(VALU_DEP_4)
	v_fmac_f32_e32 v21, 0xbe9e377a, v41
	v_fmac_f32_e32 v14, 0x3f737871, v41
	v_mul_f32_e32 v12, 0xbf4f1bbd, v39
	s_delay_alu instid0(VALU_DEP_4) | instskip(NEXT) | instid1(VALU_DEP_2)
	v_dual_fmac_f32 v46, 0x3f167918, v13 :: v_dual_sub_f32 v1, v5, v2
	v_dual_add_f32 v3, v5, v2 :: v_dual_fmac_f32 v12, 0x3f167918, v37
	s_delay_alu instid0(VALU_DEP_4) | instskip(SKIP_2) | instid1(VALU_DEP_2)
	v_dual_fmac_f32 v10, 0x3e9e377a, v7 :: v_dual_sub_f32 v7, v40, v14
	v_dual_sub_f32 v0, v4, v8 :: v_dual_mul_f32 v19, 0x3f4f1bbd, v18
	v_dual_add_f32 v2, v4, v8 :: v_dual_mul_f32 v23, 0xbf167918, v18
	v_fmac_f32_e32 v19, 0x3f167918, v15
	v_dual_sub_f32 v5, v27, v12 :: v_dual_fmac_f32 v36, 0x3e9e377a, v35
	v_add_f32_e32 v13, v27, v12
	s_delay_alu instid0(VALU_DEP_3) | instskip(SKIP_3) | instid1(VALU_DEP_4)
	v_dual_sub_f32 v11, v10, v19 :: v_dual_fmac_f32 v16, 0x3f737871, v24
	v_mul_f32_e32 v20, 0xbf167918, v39
	v_fmac_f32_e32 v46, 0x3e9e377a, v35
	v_dual_add_f32 v19, v10, v19 :: v_dual_sub_f32 v8, v36, v6
	v_sub_f32_e32 v9, v22, v16
	s_delay_alu instid0(VALU_DEP_4) | instskip(SKIP_3) | instid1(VALU_DEP_4)
	v_dual_add_f32 v17, v22, v16 :: v_dual_fmac_f32 v20, 0xbf4f1bbd, v37
	v_fmac_f32_e32 v23, 0x3f4f1bbd, v15
	v_dual_add_f32 v15, v40, v14 :: v_dual_add_f32 v14, v46, v21
	v_add_f32_e32 v16, v36, v6
	v_sub_f32_e32 v4, v45, v20
	s_delay_alu instid0(VALU_DEP_4)
	v_add_f32_e32 v18, v33, v23
	v_add_f32_e32 v12, v45, v20
	v_sub_f32_e32 v10, v33, v23
	v_sub_f32_e32 v6, v46, v21
	ds_store_2addr_b64 v34, v[2:3], v[18:19] offset1:66
	ds_store_2addr_b64 v34, v[16:17], v[14:15] offset0:132 offset1:198
	ds_store_2addr_b64 v29, v[12:13], v[0:1] offset0:8 offset1:74
	;; [unrolled: 1-line block ×4, first 2 shown]
.LBB0_17:
	s_wait_alu 0xfffe
	s_or_b32 exec_lo, exec_lo, s1
	global_wb scope:SCOPE_SE
	s_wait_dscnt 0x0
	s_barrier_signal -1
	s_barrier_wait -1
	global_inv scope:SCOPE_SE
	ds_load_b64 v[0:1], v34
	v_lshlrev_b32_e32 v2, 3, v28
	s_mov_b32 s1, exec_lo
                                        ; implicit-def: $vgpr7
                                        ; implicit-def: $vgpr8
                                        ; implicit-def: $vgpr4_vgpr5
	s_delay_alu instid0(VALU_DEP_1)
	v_sub_nc_u32_e32 v6, 0, v2
                                        ; implicit-def: $vgpr2
	v_cmpx_ne_u32_e32 0, v28
	s_wait_alu 0xfffe
	s_xor_b32 s1, exec_lo, s1
	s_cbranch_execz .LBB0_19
; %bb.18:
	ds_load_b64 v[4:5], v6 offset:5280
	s_wait_dscnt 0x0
	v_dual_mov_b32 v29, 0 :: v_dual_add_f32 v8, v5, v1
	s_delay_alu instid0(VALU_DEP_1) | instskip(SKIP_1) | instid1(VALU_DEP_3)
	v_lshlrev_b64_e32 v[2:3], 3, v[28:29]
	v_sub_f32_e32 v1, v1, v5
	v_mul_f32_e32 v9, 0.5, v8
	s_delay_alu instid0(VALU_DEP_3) | instskip(SKIP_1) | instid1(VALU_DEP_4)
	v_add_co_u32 v2, s0, s4, v2
	s_wait_alu 0xf1ff
	v_add_co_ci_u32_e64 v3, s0, s5, v3, s0
	global_load_b64 v[2:3], v[2:3], off offset:5192
	v_sub_f32_e32 v7, v0, v4
	v_dual_add_f32 v0, v4, v0 :: v_dual_mul_f32 v1, 0.5, v1
	s_delay_alu instid0(VALU_DEP_2) | instskip(SKIP_1) | instid1(VALU_DEP_1)
	v_mul_f32_e32 v5, 0.5, v7
	s_wait_loadcnt 0x0
	v_mul_f32_e32 v4, v3, v5
	s_delay_alu instid0(VALU_DEP_3) | instskip(SKIP_1) | instid1(VALU_DEP_3)
	v_fma_f32 v8, v9, v3, v1
	v_fma_f32 v1, v9, v3, -v1
	v_fma_f32 v7, 0.5, v0, v4
	v_fma_f32 v0, v0, 0.5, -v4
	s_delay_alu instid0(VALU_DEP_4) | instskip(NEXT) | instid1(VALU_DEP_4)
	v_fma_f32 v8, -v2, v5, v8
	v_fma_f32 v3, -v2, v5, v1
	s_delay_alu instid0(VALU_DEP_4) | instskip(NEXT) | instid1(VALU_DEP_4)
	v_dual_mov_b32 v4, v28 :: v_dual_fmac_f32 v7, v2, v9
	v_fma_f32 v2, -v2, v9, v0
	v_mov_b32_e32 v5, v29
                                        ; implicit-def: $vgpr0_vgpr1
.LBB0_19:
	s_wait_alu 0xfffe
	s_and_not1_saveexec_b32 s0, s1
	s_cbranch_execz .LBB0_21
; %bb.20:
	s_wait_dscnt 0x0
	v_dual_mov_b32 v8, 0 :: v_dual_add_f32 v7, v0, v1
	v_mov_b32_e32 v4, 0
	v_dual_sub_f32 v2, v0, v1 :: v_dual_mov_b32 v5, 0
	ds_load_b32 v3, v8 offset:2644
	s_wait_dscnt 0x0
	v_xor_b32_e32 v0, 0x80000000, v3
	v_mov_b32_e32 v3, 0
	ds_store_b32 v8, v0 offset:2644
.LBB0_21:
	s_wait_alu 0xfffe
	s_or_b32 exec_lo, exec_lo, s0
	s_wait_dscnt 0x0
	v_lshlrev_b64_e32 v[0:1], 3, v[4:5]
	s_add_nc_u64 s[0:1], s[4:5], 0x1448
	s_wait_alu 0xfffe
	s_delay_alu instid0(VALU_DEP_1) | instskip(SKIP_1) | instid1(VALU_DEP_2)
	v_add_co_u32 v4, s0, s0, v0
	s_wait_alu 0xf1ff
	v_add_co_ci_u32_e64 v5, s0, s1, v1, s0
	s_clause 0x1
	global_load_b64 v[9:10], v[4:5], off offset:880
	global_load_b64 v[4:5], v[4:5], off offset:1760
	ds_store_2addr_b32 v34, v7, v8 offset1:1
	ds_store_b64 v6, v[2:3] offset:5280
	ds_load_b64 v[2:3], v34 offset:880
	ds_load_b64 v[7:8], v6 offset:4400
	s_wait_dscnt 0x0
	v_dual_sub_f32 v11, v2, v7 :: v_dual_add_f32 v12, v3, v8
	v_dual_sub_f32 v3, v3, v8 :: v_dual_add_f32 v2, v2, v7
	s_delay_alu instid0(VALU_DEP_2) | instskip(NEXT) | instid1(VALU_DEP_2)
	v_dual_mul_f32 v8, 0.5, v11 :: v_dual_mul_f32 v11, 0.5, v12
	v_mul_f32_e32 v3, 0.5, v3
	s_wait_loadcnt 0x1
	s_delay_alu instid0(VALU_DEP_2) | instskip(NEXT) | instid1(VALU_DEP_2)
	v_mul_f32_e32 v7, v10, v8
	v_fma_f32 v12, v11, v10, v3
	v_fma_f32 v3, v11, v10, -v3
	s_delay_alu instid0(VALU_DEP_3) | instskip(NEXT) | instid1(VALU_DEP_2)
	v_fma_f32 v10, 0.5, v2, v7
	v_fma_f32 v3, -v9, v8, v3
	s_delay_alu instid0(VALU_DEP_2) | instskip(SKIP_2) | instid1(VALU_DEP_2)
	v_fmac_f32_e32 v10, v9, v11
	v_fma_f32 v2, v2, 0.5, -v7
	v_fma_f32 v7, -v9, v8, v12
	v_fma_f32 v2, -v9, v11, v2
	ds_store_2addr_b32 v34, v10, v7 offset0:220 offset1:221
	ds_store_b64 v6, v[2:3] offset:4400
	ds_load_b64 v[2:3], v34 offset:1760
	ds_load_b64 v[7:8], v6 offset:3520
	s_wait_dscnt 0x0
	v_dual_sub_f32 v9, v2, v7 :: v_dual_add_f32 v10, v3, v8
	v_dual_sub_f32 v3, v3, v8 :: v_dual_add_f32 v2, v2, v7
	s_delay_alu instid0(VALU_DEP_2) | instskip(NEXT) | instid1(VALU_DEP_2)
	v_dual_mul_f32 v8, 0.5, v9 :: v_dual_mul_f32 v9, 0.5, v10
	v_mul_f32_e32 v3, 0.5, v3
	s_wait_loadcnt 0x0
	s_delay_alu instid0(VALU_DEP_2) | instskip(NEXT) | instid1(VALU_DEP_1)
	v_mul_f32_e32 v7, v5, v8
	v_fma_f32 v11, 0.5, v2, v7
	v_fma_f32 v7, v2, 0.5, -v7
	v_add_nc_u32_e32 v2, 0x400, v34
	v_fma_f32 v10, v9, v5, v3
	v_fma_f32 v3, v9, v5, -v3
	v_fmac_f32_e32 v11, v4, v9
	s_delay_alu instid0(VALU_DEP_3) | instskip(NEXT) | instid1(VALU_DEP_3)
	v_fma_f32 v10, -v4, v8, v10
	v_fma_f32 v5, -v4, v8, v3
	;; [unrolled: 1-line block ×3, first 2 shown]
	ds_store_2addr_b32 v2, v11, v10 offset0:184 offset1:185
	ds_store_b64 v6, v[4:5] offset:3520
	global_wb scope:SCOPE_SE
	s_wait_dscnt 0x0
	s_barrier_signal -1
	s_barrier_wait -1
	global_inv scope:SCOPE_SE
	s_and_saveexec_b32 s0, vcc_lo
	s_cbranch_execz .LBB0_24
; %bb.22:
	v_add_nc_u32_e32 v3, 0xc00, v34
	ds_load_2addr_b64 v[4:7], v34 offset1:110
	ds_load_2addr_b64 v[8:11], v2 offset0:92 offset1:202
	ds_load_2addr_b64 v[12:15], v3 offset0:56 offset1:166
	v_add_co_u32 v2, vcc_lo, s8, v30
	s_wait_alu 0xfffd
	v_add_co_ci_u32_e32 v3, vcc_lo, s9, v31, vcc_lo
	s_delay_alu instid0(VALU_DEP_2) | instskip(SKIP_1) | instid1(VALU_DEP_2)
	v_add_co_u32 v0, vcc_lo, v2, v0
	s_wait_alu 0xfffd
	v_add_co_ci_u32_e32 v1, vcc_lo, v3, v1, vcc_lo
	v_cmp_eq_u32_e32 vcc_lo, 0x6d, v28
	s_wait_dscnt 0x2
	s_clause 0x1
	global_store_b64 v[0:1], v[4:5], off
	global_store_b64 v[0:1], v[6:7], off offset:880
	s_wait_dscnt 0x1
	s_clause 0x1
	global_store_b64 v[0:1], v[8:9], off offset:1760
	global_store_b64 v[0:1], v[10:11], off offset:2640
	s_wait_dscnt 0x0
	s_clause 0x1
	global_store_b64 v[0:1], v[12:13], off offset:3520
	global_store_b64 v[0:1], v[14:15], off offset:4400
	s_and_b32 exec_lo, exec_lo, vcc_lo
	s_cbranch_execz .LBB0_24
; %bb.23:
	v_mov_b32_e32 v0, 0
	ds_load_b64 v[0:1], v0 offset:5280
	s_wait_dscnt 0x0
	global_store_b64 v[2:3], v[0:1], off offset:5280
.LBB0_24:
	s_nop 0
	s_sendmsg sendmsg(MSG_DEALLOC_VGPRS)
	s_endpgm
	.section	.rodata,"a",@progbits
	.p2align	6, 0x0
	.amdhsa_kernel fft_rtc_back_len660_factors_11_6_10_wgs_110_tpt_110_halfLds_sp_ip_CI_unitstride_sbrr_R2C_dirReg
		.amdhsa_group_segment_fixed_size 0
		.amdhsa_private_segment_fixed_size 0
		.amdhsa_kernarg_size 88
		.amdhsa_user_sgpr_count 2
		.amdhsa_user_sgpr_dispatch_ptr 0
		.amdhsa_user_sgpr_queue_ptr 0
		.amdhsa_user_sgpr_kernarg_segment_ptr 1
		.amdhsa_user_sgpr_dispatch_id 0
		.amdhsa_user_sgpr_private_segment_size 0
		.amdhsa_wavefront_size32 1
		.amdhsa_uses_dynamic_stack 0
		.amdhsa_enable_private_segment 0
		.amdhsa_system_sgpr_workgroup_id_x 1
		.amdhsa_system_sgpr_workgroup_id_y 0
		.amdhsa_system_sgpr_workgroup_id_z 0
		.amdhsa_system_sgpr_workgroup_info 0
		.amdhsa_system_vgpr_workitem_id 0
		.amdhsa_next_free_vgpr 119
		.amdhsa_next_free_sgpr 32
		.amdhsa_reserve_vcc 1
		.amdhsa_float_round_mode_32 0
		.amdhsa_float_round_mode_16_64 0
		.amdhsa_float_denorm_mode_32 3
		.amdhsa_float_denorm_mode_16_64 3
		.amdhsa_fp16_overflow 0
		.amdhsa_workgroup_processor_mode 1
		.amdhsa_memory_ordered 1
		.amdhsa_forward_progress 0
		.amdhsa_round_robin_scheduling 0
		.amdhsa_exception_fp_ieee_invalid_op 0
		.amdhsa_exception_fp_denorm_src 0
		.amdhsa_exception_fp_ieee_div_zero 0
		.amdhsa_exception_fp_ieee_overflow 0
		.amdhsa_exception_fp_ieee_underflow 0
		.amdhsa_exception_fp_ieee_inexact 0
		.amdhsa_exception_int_div_zero 0
	.end_amdhsa_kernel
	.text
.Lfunc_end0:
	.size	fft_rtc_back_len660_factors_11_6_10_wgs_110_tpt_110_halfLds_sp_ip_CI_unitstride_sbrr_R2C_dirReg, .Lfunc_end0-fft_rtc_back_len660_factors_11_6_10_wgs_110_tpt_110_halfLds_sp_ip_CI_unitstride_sbrr_R2C_dirReg
                                        ; -- End function
	.section	.AMDGPU.csdata,"",@progbits
; Kernel info:
; codeLenInByte = 7024
; NumSgprs: 34
; NumVgprs: 119
; ScratchSize: 0
; MemoryBound: 0
; FloatMode: 240
; IeeeMode: 1
; LDSByteSize: 0 bytes/workgroup (compile time only)
; SGPRBlocks: 4
; VGPRBlocks: 14
; NumSGPRsForWavesPerEU: 34
; NumVGPRsForWavesPerEU: 119
; Occupancy: 12
; WaveLimiterHint : 1
; COMPUTE_PGM_RSRC2:SCRATCH_EN: 0
; COMPUTE_PGM_RSRC2:USER_SGPR: 2
; COMPUTE_PGM_RSRC2:TRAP_HANDLER: 0
; COMPUTE_PGM_RSRC2:TGID_X_EN: 1
; COMPUTE_PGM_RSRC2:TGID_Y_EN: 0
; COMPUTE_PGM_RSRC2:TGID_Z_EN: 0
; COMPUTE_PGM_RSRC2:TIDIG_COMP_CNT: 0
	.text
	.p2alignl 7, 3214868480
	.fill 96, 4, 3214868480
	.type	__hip_cuid_dc42b893b6026dba,@object ; @__hip_cuid_dc42b893b6026dba
	.section	.bss,"aw",@nobits
	.globl	__hip_cuid_dc42b893b6026dba
__hip_cuid_dc42b893b6026dba:
	.byte	0                               ; 0x0
	.size	__hip_cuid_dc42b893b6026dba, 1

	.ident	"AMD clang version 19.0.0git (https://github.com/RadeonOpenCompute/llvm-project roc-6.4.0 25133 c7fe45cf4b819c5991fe208aaa96edf142730f1d)"
	.section	".note.GNU-stack","",@progbits
	.addrsig
	.addrsig_sym __hip_cuid_dc42b893b6026dba
	.amdgpu_metadata
---
amdhsa.kernels:
  - .args:
      - .actual_access:  read_only
        .address_space:  global
        .offset:         0
        .size:           8
        .value_kind:     global_buffer
      - .offset:         8
        .size:           8
        .value_kind:     by_value
      - .actual_access:  read_only
        .address_space:  global
        .offset:         16
        .size:           8
        .value_kind:     global_buffer
      - .actual_access:  read_only
        .address_space:  global
        .offset:         24
        .size:           8
        .value_kind:     global_buffer
      - .offset:         32
        .size:           8
        .value_kind:     by_value
      - .actual_access:  read_only
        .address_space:  global
        .offset:         40
        .size:           8
        .value_kind:     global_buffer
      - .actual_access:  read_only
        .address_space:  global
        .offset:         48
        .size:           8
        .value_kind:     global_buffer
      - .offset:         56
        .size:           4
        .value_kind:     by_value
      - .actual_access:  read_only
        .address_space:  global
        .offset:         64
        .size:           8
        .value_kind:     global_buffer
      - .actual_access:  read_only
        .address_space:  global
        .offset:         72
        .size:           8
        .value_kind:     global_buffer
      - .address_space:  global
        .offset:         80
        .size:           8
        .value_kind:     global_buffer
    .group_segment_fixed_size: 0
    .kernarg_segment_align: 8
    .kernarg_segment_size: 88
    .language:       OpenCL C
    .language_version:
      - 2
      - 0
    .max_flat_workgroup_size: 110
    .name:           fft_rtc_back_len660_factors_11_6_10_wgs_110_tpt_110_halfLds_sp_ip_CI_unitstride_sbrr_R2C_dirReg
    .private_segment_fixed_size: 0
    .sgpr_count:     34
    .sgpr_spill_count: 0
    .symbol:         fft_rtc_back_len660_factors_11_6_10_wgs_110_tpt_110_halfLds_sp_ip_CI_unitstride_sbrr_R2C_dirReg.kd
    .uniform_work_group_size: 1
    .uses_dynamic_stack: false
    .vgpr_count:     119
    .vgpr_spill_count: 0
    .wavefront_size: 32
    .workgroup_processor_mode: 1
amdhsa.target:   amdgcn-amd-amdhsa--gfx1201
amdhsa.version:
  - 1
  - 2
...

	.end_amdgpu_metadata
